;; amdgpu-corpus repo=ROCm/rocFFT kind=compiled arch=gfx906 opt=O3
	.text
	.amdgcn_target "amdgcn-amd-amdhsa--gfx906"
	.amdhsa_code_object_version 6
	.protected	fft_rtc_back_len2304_factors_6_6_4_4_4_wgs_192_tpt_192_halfLds_dp_ip_CI_unitstride_sbrr_C2R_dirReg ; -- Begin function fft_rtc_back_len2304_factors_6_6_4_4_4_wgs_192_tpt_192_halfLds_dp_ip_CI_unitstride_sbrr_C2R_dirReg
	.globl	fft_rtc_back_len2304_factors_6_6_4_4_4_wgs_192_tpt_192_halfLds_dp_ip_CI_unitstride_sbrr_C2R_dirReg
	.p2align	8
	.type	fft_rtc_back_len2304_factors_6_6_4_4_4_wgs_192_tpt_192_halfLds_dp_ip_CI_unitstride_sbrr_C2R_dirReg,@function
fft_rtc_back_len2304_factors_6_6_4_4_4_wgs_192_tpt_192_halfLds_dp_ip_CI_unitstride_sbrr_C2R_dirReg: ; @fft_rtc_back_len2304_factors_6_6_4_4_4_wgs_192_tpt_192_halfLds_dp_ip_CI_unitstride_sbrr_C2R_dirReg
; %bb.0:
	s_load_dwordx2 s[10:11], s[4:5], 0x50
	s_load_dwordx4 s[12:15], s[4:5], 0x0
	s_load_dwordx2 s[2:3], s[4:5], 0x18
	v_mul_u32_u24_e32 v1, 0x156, v0
	v_add_u32_sdwa v5, s6, v1 dst_sel:DWORD dst_unused:UNUSED_PAD src0_sel:DWORD src1_sel:WORD_1
	v_mov_b32_e32 v3, 0
	s_waitcnt lgkmcnt(0)
	v_cmp_lt_u64_e64 s[0:1], s[14:15], 2
	v_mov_b32_e32 v1, 0
	v_mov_b32_e32 v6, v3
	s_and_b64 vcc, exec, s[0:1]
	v_mov_b32_e32 v2, 0
	s_cbranch_vccnz .LBB0_8
; %bb.1:
	s_load_dwordx2 s[0:1], s[4:5], 0x10
	s_add_u32 s6, s2, 8
	s_addc_u32 s7, s3, 0
	v_mov_b32_e32 v1, 0
	v_mov_b32_e32 v2, 0
	s_waitcnt lgkmcnt(0)
	s_add_u32 s8, s0, 8
	s_addc_u32 s9, s1, 0
	s_mov_b64 s[16:17], 1
.LBB0_2:                                ; =>This Inner Loop Header: Depth=1
	s_load_dwordx2 s[18:19], s[8:9], 0x0
                                        ; implicit-def: $vgpr7_vgpr8
	s_waitcnt lgkmcnt(0)
	v_or_b32_e32 v4, s19, v6
	v_cmp_ne_u64_e32 vcc, 0, v[3:4]
	s_and_saveexec_b64 s[0:1], vcc
	s_xor_b64 s[20:21], exec, s[0:1]
	s_cbranch_execz .LBB0_4
; %bb.3:                                ;   in Loop: Header=BB0_2 Depth=1
	v_cvt_f32_u32_e32 v4, s18
	v_cvt_f32_u32_e32 v7, s19
	s_sub_u32 s0, 0, s18
	s_subb_u32 s1, 0, s19
	v_mac_f32_e32 v4, 0x4f800000, v7
	v_rcp_f32_e32 v4, v4
	v_mul_f32_e32 v4, 0x5f7ffffc, v4
	v_mul_f32_e32 v7, 0x2f800000, v4
	v_trunc_f32_e32 v7, v7
	v_mac_f32_e32 v4, 0xcf800000, v7
	v_cvt_u32_f32_e32 v7, v7
	v_cvt_u32_f32_e32 v4, v4
	v_mul_lo_u32 v8, s0, v7
	v_mul_hi_u32 v9, s0, v4
	v_mul_lo_u32 v11, s1, v4
	v_mul_lo_u32 v10, s0, v4
	v_add_u32_e32 v8, v9, v8
	v_add_u32_e32 v8, v8, v11
	v_mul_hi_u32 v9, v4, v10
	v_mul_lo_u32 v11, v4, v8
	v_mul_hi_u32 v13, v4, v8
	v_mul_hi_u32 v12, v7, v10
	v_mul_lo_u32 v10, v7, v10
	v_mul_hi_u32 v14, v7, v8
	v_add_co_u32_e32 v9, vcc, v9, v11
	v_addc_co_u32_e32 v11, vcc, 0, v13, vcc
	v_mul_lo_u32 v8, v7, v8
	v_add_co_u32_e32 v9, vcc, v9, v10
	v_addc_co_u32_e32 v9, vcc, v11, v12, vcc
	v_addc_co_u32_e32 v10, vcc, 0, v14, vcc
	v_add_co_u32_e32 v8, vcc, v9, v8
	v_addc_co_u32_e32 v9, vcc, 0, v10, vcc
	v_add_co_u32_e32 v4, vcc, v4, v8
	v_addc_co_u32_e32 v7, vcc, v7, v9, vcc
	v_mul_lo_u32 v8, s0, v7
	v_mul_hi_u32 v9, s0, v4
	v_mul_lo_u32 v10, s1, v4
	v_mul_lo_u32 v11, s0, v4
	v_add_u32_e32 v8, v9, v8
	v_add_u32_e32 v8, v8, v10
	v_mul_lo_u32 v12, v4, v8
	v_mul_hi_u32 v13, v4, v11
	v_mul_hi_u32 v14, v4, v8
	;; [unrolled: 1-line block ×3, first 2 shown]
	v_mul_lo_u32 v11, v7, v11
	v_mul_hi_u32 v9, v7, v8
	v_add_co_u32_e32 v12, vcc, v13, v12
	v_addc_co_u32_e32 v13, vcc, 0, v14, vcc
	v_mul_lo_u32 v8, v7, v8
	v_add_co_u32_e32 v11, vcc, v12, v11
	v_addc_co_u32_e32 v10, vcc, v13, v10, vcc
	v_addc_co_u32_e32 v9, vcc, 0, v9, vcc
	v_add_co_u32_e32 v8, vcc, v10, v8
	v_addc_co_u32_e32 v9, vcc, 0, v9, vcc
	v_add_co_u32_e32 v4, vcc, v4, v8
	v_addc_co_u32_e32 v9, vcc, v7, v9, vcc
	v_mad_u64_u32 v[7:8], s[0:1], v5, v9, 0
	v_mul_hi_u32 v10, v5, v4
	v_add_co_u32_e32 v11, vcc, v10, v7
	v_addc_co_u32_e32 v12, vcc, 0, v8, vcc
	v_mad_u64_u32 v[7:8], s[0:1], v6, v4, 0
	v_mad_u64_u32 v[9:10], s[0:1], v6, v9, 0
	v_add_co_u32_e32 v4, vcc, v11, v7
	v_addc_co_u32_e32 v4, vcc, v12, v8, vcc
	v_addc_co_u32_e32 v7, vcc, 0, v10, vcc
	v_add_co_u32_e32 v4, vcc, v4, v9
	v_addc_co_u32_e32 v9, vcc, 0, v7, vcc
	v_mul_lo_u32 v10, s19, v4
	v_mul_lo_u32 v11, s18, v9
	v_mad_u64_u32 v[7:8], s[0:1], s18, v4, 0
	v_add3_u32 v8, v8, v11, v10
	v_sub_u32_e32 v10, v6, v8
	v_mov_b32_e32 v11, s19
	v_sub_co_u32_e32 v7, vcc, v5, v7
	v_subb_co_u32_e64 v10, s[0:1], v10, v11, vcc
	v_subrev_co_u32_e64 v11, s[0:1], s18, v7
	v_subbrev_co_u32_e64 v10, s[0:1], 0, v10, s[0:1]
	v_cmp_le_u32_e64 s[0:1], s19, v10
	v_cndmask_b32_e64 v12, 0, -1, s[0:1]
	v_cmp_le_u32_e64 s[0:1], s18, v11
	v_cndmask_b32_e64 v11, 0, -1, s[0:1]
	v_cmp_eq_u32_e64 s[0:1], s19, v10
	v_cndmask_b32_e64 v10, v12, v11, s[0:1]
	v_add_co_u32_e64 v11, s[0:1], 2, v4
	v_addc_co_u32_e64 v12, s[0:1], 0, v9, s[0:1]
	v_add_co_u32_e64 v13, s[0:1], 1, v4
	v_addc_co_u32_e64 v14, s[0:1], 0, v9, s[0:1]
	v_subb_co_u32_e32 v8, vcc, v6, v8, vcc
	v_cmp_ne_u32_e64 s[0:1], 0, v10
	v_cmp_le_u32_e32 vcc, s19, v8
	v_cndmask_b32_e64 v10, v14, v12, s[0:1]
	v_cndmask_b32_e64 v12, 0, -1, vcc
	v_cmp_le_u32_e32 vcc, s18, v7
	v_cndmask_b32_e64 v7, 0, -1, vcc
	v_cmp_eq_u32_e32 vcc, s19, v8
	v_cndmask_b32_e32 v7, v12, v7, vcc
	v_cmp_ne_u32_e32 vcc, 0, v7
	v_cndmask_b32_e64 v7, v13, v11, s[0:1]
	v_cndmask_b32_e32 v8, v9, v10, vcc
	v_cndmask_b32_e32 v7, v4, v7, vcc
.LBB0_4:                                ;   in Loop: Header=BB0_2 Depth=1
	s_andn2_saveexec_b64 s[0:1], s[20:21]
	s_cbranch_execz .LBB0_6
; %bb.5:                                ;   in Loop: Header=BB0_2 Depth=1
	v_cvt_f32_u32_e32 v4, s18
	s_sub_i32 s20, 0, s18
	v_rcp_iflag_f32_e32 v4, v4
	v_mul_f32_e32 v4, 0x4f7ffffe, v4
	v_cvt_u32_f32_e32 v4, v4
	v_mul_lo_u32 v7, s20, v4
	v_mul_hi_u32 v7, v4, v7
	v_add_u32_e32 v4, v4, v7
	v_mul_hi_u32 v4, v5, v4
	v_mul_lo_u32 v7, v4, s18
	v_add_u32_e32 v8, 1, v4
	v_sub_u32_e32 v7, v5, v7
	v_subrev_u32_e32 v9, s18, v7
	v_cmp_le_u32_e32 vcc, s18, v7
	v_cndmask_b32_e32 v7, v7, v9, vcc
	v_cndmask_b32_e32 v4, v4, v8, vcc
	v_add_u32_e32 v8, 1, v4
	v_cmp_le_u32_e32 vcc, s18, v7
	v_cndmask_b32_e32 v7, v4, v8, vcc
	v_mov_b32_e32 v8, v3
.LBB0_6:                                ;   in Loop: Header=BB0_2 Depth=1
	s_or_b64 exec, exec, s[0:1]
	v_mul_lo_u32 v4, v8, s18
	v_mul_lo_u32 v11, v7, s19
	v_mad_u64_u32 v[9:10], s[0:1], v7, s18, 0
	s_load_dwordx2 s[0:1], s[6:7], 0x0
	s_add_u32 s16, s16, 1
	v_add3_u32 v4, v10, v11, v4
	v_sub_co_u32_e32 v5, vcc, v5, v9
	v_subb_co_u32_e32 v4, vcc, v6, v4, vcc
	s_waitcnt lgkmcnt(0)
	v_mul_lo_u32 v4, s0, v4
	v_mul_lo_u32 v6, s1, v5
	v_mad_u64_u32 v[1:2], s[0:1], s0, v5, v[1:2]
	s_addc_u32 s17, s17, 0
	s_add_u32 s6, s6, 8
	v_add3_u32 v2, v6, v2, v4
	v_mov_b32_e32 v4, s14
	v_mov_b32_e32 v5, s15
	s_addc_u32 s7, s7, 0
	v_cmp_ge_u64_e32 vcc, s[16:17], v[4:5]
	s_add_u32 s8, s8, 8
	s_addc_u32 s9, s9, 0
	s_cbranch_vccnz .LBB0_9
; %bb.7:                                ;   in Loop: Header=BB0_2 Depth=1
	v_mov_b32_e32 v5, v7
	v_mov_b32_e32 v6, v8
	s_branch .LBB0_2
.LBB0_8:
	v_mov_b32_e32 v8, v6
	v_mov_b32_e32 v7, v5
.LBB0_9:
	s_lshl_b64 s[0:1], s[14:15], 3
	s_add_u32 s0, s2, s0
	s_addc_u32 s1, s3, s1
	s_load_dwordx2 s[2:3], s[0:1], 0x0
	s_load_dwordx2 s[6:7], s[4:5], 0x20
	s_waitcnt lgkmcnt(0)
	v_mad_u64_u32 v[1:2], s[0:1], s2, v7, v[1:2]
	v_mul_lo_u32 v3, s2, v8
	v_mul_lo_u32 v4, s3, v7
	s_mov_b32 s0, 0x1555556
	v_mul_hi_u32 v5, v0, s0
	v_cmp_gt_u64_e64 s[0:1], s[6:7], v[7:8]
	v_add3_u32 v2, v4, v2, v3
	v_lshlrev_b64 v[6:7], 4, v[1:2]
	v_mul_u32_u24_e32 v3, 0xc0, v5
	v_sub_u32_e32 v4, v0, v3
	s_and_saveexec_b64 s[14:15], s[0:1]
	s_cbranch_execz .LBB0_13
; %bb.10:
	v_mov_b32_e32 v5, 0
	v_mov_b32_e32 v0, s11
	v_add_co_u32_e32 v1, vcc, s10, v6
	v_lshlrev_b64 v[2:3], 4, v[4:5]
	v_addc_co_u32_e32 v0, vcc, v0, v7, vcc
	v_or_b32_e32 v16, 0x300, v4
	v_mov_b32_e32 v17, v5
	v_add_co_u32_e32 v2, vcc, v1, v2
	v_lshlrev_b64 v[16:17], 4, v[16:17]
	v_addc_co_u32_e32 v3, vcc, v0, v3, vcc
	v_add_co_u32_e32 v24, vcc, v1, v16
	v_addc_co_u32_e32 v25, vcc, v0, v17, vcc
	v_add_co_u32_e32 v40, vcc, 0x1000, v2
	s_mov_b64 s[2:3], vcc
	v_add_co_u32_e32 v42, vcc, 0x2000, v2
	s_mov_b64 s[4:5], vcc
	v_add_co_u32_e32 v26, vcc, 0x3000, v2
	global_load_dwordx4 v[8:11], v[2:3], off
	global_load_dwordx4 v[12:15], v[2:3], off offset:3072
	v_addc_co_u32_e32 v27, vcc, 0, v3, vcc
	global_load_dwordx4 v[16:19], v[24:25], off
	global_load_dwordx4 v[20:23], v[26:27], off offset:3072
	v_or_b32_e32 v24, 0x600, v4
	v_mov_b32_e32 v25, v5
	v_lshlrev_b64 v[24:25], 4, v[24:25]
	v_add_co_u32_e32 v32, vcc, v1, v24
	v_addc_co_u32_e32 v33, vcc, v0, v25, vcc
	v_add_co_u32_e32 v48, vcc, 0x4000, v2
	s_mov_b64 s[6:7], vcc
	v_add_co_u32_e32 v50, vcc, 0x5000, v2
	s_mov_b64 s[8:9], vcc
	v_add_co_u32_e32 v34, vcc, 0x6000, v2
	v_addc_co_u32_e32 v35, vcc, 0, v3, vcc
	v_addc_co_u32_e64 v41, vcc, 0, v3, s[2:3]
	v_addc_co_u32_e64 v43, vcc, 0, v3, s[4:5]
	;; [unrolled: 1-line block ×4, first 2 shown]
	v_add_co_u32_e32 v56, vcc, 0x7000, v2
	v_addc_co_u32_e32 v57, vcc, 0, v3, vcc
	v_add_co_u32_e32 v2, vcc, 0x8000, v2
	global_load_dwordx4 v[24:27], v[32:33], off
	global_load_dwordx4 v[28:31], v[34:35], off offset:3072
	s_nop 0
	global_load_dwordx4 v[32:35], v[40:41], off offset:2048
	global_load_dwordx4 v[36:39], v[42:43], off offset:1024
	s_nop 0
	global_load_dwordx4 v[40:43], v[48:49], off offset:2048
	global_load_dwordx4 v[44:47], v[50:51], off offset:1024
	v_addc_co_u32_e32 v3, vcc, 0, v3, vcc
	global_load_dwordx4 v[48:51], v[56:57], off offset:2048
	global_load_dwordx4 v[52:55], v[2:3], off offset:1024
	s_movk_i32 s2, 0xbf
	v_lshl_add_u32 v2, v4, 4, 0
	v_cmp_eq_u32_e32 vcc, s2, v4
	s_waitcnt vmcnt(11)
	ds_write_b128 v2, v[8:11]
	s_waitcnt vmcnt(10)
	ds_write_b128 v2, v[12:15] offset:3072
	s_waitcnt vmcnt(9)
	ds_write_b128 v2, v[16:19] offset:12288
	;; [unrolled: 2-line block ×5, first 2 shown]
	ds_write_b128 v2, v[20:23] offset:15360
	s_waitcnt vmcnt(3)
	ds_write_b128 v2, v[40:43] offset:18432
	s_waitcnt vmcnt(2)
	ds_write_b128 v2, v[44:47] offset:21504
	ds_write_b128 v2, v[28:31] offset:27648
	s_waitcnt vmcnt(1)
	ds_write_b128 v2, v[48:51] offset:30720
	s_waitcnt vmcnt(0)
	ds_write_b128 v2, v[52:55] offset:33792
	s_and_saveexec_b64 s[2:3], vcc
	s_cbranch_execz .LBB0_12
; %bb.11:
	v_add_co_u32_e32 v1, vcc, 0x9000, v1
	v_addc_co_u32_e32 v2, vcc, 0, v0, vcc
	global_load_dwordx4 v[0:3], v[1:2], off
	v_mov_b32_e32 v4, 0xbf
	s_waitcnt vmcnt(0)
	ds_write_b128 v5, v[0:3] offset:36864
.LBB0_12:
	s_or_b64 exec, exec, s[2:3]
.LBB0_13:
	s_or_b64 exec, exec, s[14:15]
	v_lshlrev_b32_e32 v0, 4, v4
	v_add_u32_e32 v14, 0, v0
	s_waitcnt lgkmcnt(0)
	s_barrier
	v_sub_u32_e32 v15, 0, v0
	ds_read_b64 v[10:11], v14
	ds_read_b64 v[12:13], v15 offset:36864
	s_add_u32 s4, s12, 0x8fa0
	s_addc_u32 s5, s13, 0
	v_cmp_ne_u32_e32 vcc, 0, v4
                                        ; implicit-def: $vgpr8_vgpr9
	s_waitcnt lgkmcnt(0)
	v_add_f64 v[0:1], v[10:11], v[12:13]
	v_add_f64 v[2:3], v[10:11], -v[12:13]
	s_and_saveexec_b64 s[2:3], vcc
	s_xor_b64 s[2:3], exec, s[2:3]
	s_cbranch_execz .LBB0_15
; %bb.14:
	v_mov_b32_e32 v5, 0
	v_lshlrev_b64 v[0:1], 4, v[4:5]
	v_mov_b32_e32 v2, s5
	v_add_co_u32_e32 v0, vcc, s4, v0
	v_addc_co_u32_e32 v1, vcc, v2, v1, vcc
	global_load_dwordx4 v[16:19], v[0:1], off
	ds_read_b64 v[0:1], v15 offset:36872
	ds_read_b64 v[2:3], v14 offset:8
	v_add_f64 v[8:9], v[10:11], v[12:13]
	v_add_f64 v[12:13], v[10:11], -v[12:13]
	s_waitcnt lgkmcnt(0)
	v_add_f64 v[20:21], v[0:1], v[2:3]
	v_add_f64 v[0:1], v[2:3], -v[0:1]
	s_waitcnt vmcnt(0)
	v_fma_f64 v[2:3], -v[12:13], v[18:19], v[8:9]
	v_fma_f64 v[10:11], v[20:21], v[18:19], -v[0:1]
	v_fma_f64 v[22:23], v[12:13], v[18:19], v[8:9]
	v_fma_f64 v[18:19], v[20:21], v[18:19], v[0:1]
	;; [unrolled: 1-line block ×4, first 2 shown]
	v_fma_f64 v[0:1], -v[20:21], v[16:17], v[22:23]
	v_fma_f64 v[2:3], v[12:13], v[16:17], v[18:19]
	ds_write_b128 v15, v[8:11] offset:36864
	v_mov_b32_e32 v9, v5
	v_mov_b32_e32 v8, v4
.LBB0_15:
	s_andn2_saveexec_b64 s[2:3], s[2:3]
	s_cbranch_execz .LBB0_17
; %bb.16:
	v_mov_b32_e32 v5, 0
	ds_read_b128 v[8:11], v5 offset:18432
	s_waitcnt lgkmcnt(0)
	v_add_f64 v[16:17], v[8:9], v[8:9]
	v_mul_f64 v[18:19], v[10:11], -2.0
	v_mov_b32_e32 v8, 0
	v_mov_b32_e32 v9, 0
	ds_write_b128 v5, v[16:19] offset:18432
.LBB0_17:
	s_or_b64 exec, exec, s[2:3]
	v_lshlrev_b64 v[8:9], 4, v[8:9]
	v_mov_b32_e32 v5, s5
	v_add_co_u32_e32 v28, vcc, s4, v8
	v_addc_co_u32_e32 v29, vcc, v5, v9, vcc
	global_load_dwordx4 v[8:11], v[28:29], off offset:3072
	s_movk_i32 s2, 0x1000
	v_add_co_u32_e32 v12, vcc, s2, v28
	v_addc_co_u32_e32 v13, vcc, 0, v29, vcc
	global_load_dwordx4 v[16:19], v[12:13], off offset:2048
	ds_write_b128 v14, v[0:3]
	ds_read_b128 v[0:3], v14 offset:3072
	ds_read_b128 v[20:23], v15 offset:33792
	s_movk_i32 s6, 0x2000
	v_add_co_u32_e32 v12, vcc, s6, v28
	v_addc_co_u32_e32 v13, vcc, 0, v29, vcc
	s_waitcnt lgkmcnt(0)
	v_add_f64 v[24:25], v[0:1], v[20:21]
	v_add_f64 v[26:27], v[22:23], v[2:3]
	v_add_f64 v[30:31], v[0:1], -v[20:21]
	v_add_f64 v[0:1], v[2:3], -v[22:23]
	global_load_dwordx4 v[20:23], v[12:13], off offset:1024
	s_movk_i32 s2, 0x3000
	s_movk_i32 s7, 0xab
	s_mov_b32 s3, 0x3febb67a
	s_waitcnt vmcnt(2)
	v_fma_f64 v[2:3], v[30:31], v[10:11], v[24:25]
	v_fma_f64 v[12:13], v[26:27], v[10:11], v[0:1]
	v_fma_f64 v[24:25], -v[30:31], v[10:11], v[24:25]
	v_fma_f64 v[32:33], v[26:27], v[10:11], -v[0:1]
	v_fma_f64 v[0:1], -v[26:27], v[8:9], v[2:3]
	v_fma_f64 v[2:3], v[30:31], v[8:9], v[12:13]
	v_fma_f64 v[10:11], v[26:27], v[8:9], v[24:25]
	;; [unrolled: 1-line block ×3, first 2 shown]
	v_or_b32_e32 v8, 0x300, v4
	v_mov_b32_e32 v9, 0
	v_lshlrev_b64 v[24:25], 4, v[8:9]
	ds_write_b128 v14, v[0:3] offset:3072
	ds_write_b128 v15, v[10:13] offset:33792
	v_add_co_u32_e32 v24, vcc, s4, v24
	ds_read_b128 v[0:3], v14 offset:6144
	ds_read_b128 v[10:13], v15 offset:30720
	v_addc_co_u32_e32 v25, vcc, v5, v25, vcc
	global_load_dwordx4 v[24:27], v[24:25], off
	v_mov_b32_e32 v5, 5
	s_waitcnt lgkmcnt(0)
	v_add_f64 v[30:31], v[0:1], v[10:11]
	v_add_f64 v[32:33], v[12:13], v[2:3]
	v_add_f64 v[34:35], v[0:1], -v[10:11]
	v_add_f64 v[0:1], v[2:3], -v[12:13]
	s_mov_b32 s4, 0xe8584caa
	s_mov_b32 s5, 0xbfebb67a
	s_waitcnt vmcnt(2)
	v_fma_f64 v[2:3], v[34:35], v[18:19], v[30:31]
	v_fma_f64 v[10:11], v[32:33], v[18:19], v[0:1]
	v_fma_f64 v[12:13], -v[34:35], v[18:19], v[30:31]
	v_fma_f64 v[18:19], v[32:33], v[18:19], -v[0:1]
	v_fma_f64 v[0:1], -v[32:33], v[16:17], v[2:3]
	v_fma_f64 v[2:3], v[34:35], v[16:17], v[10:11]
	v_fma_f64 v[10:11], v[32:33], v[16:17], v[12:13]
	;; [unrolled: 1-line block ×3, first 2 shown]
	ds_write_b128 v14, v[0:3] offset:6144
	ds_write_b128 v15, v[10:13] offset:30720
	v_add_co_u32_e32 v0, vcc, s2, v28
	v_addc_co_u32_e32 v1, vcc, 0, v29, vcc
	ds_read_b128 v[10:13], v14 offset:9216
	ds_read_b128 v[16:19], v15 offset:27648
	global_load_dwordx4 v[0:3], v[0:1], off offset:3072
	s_movk_i32 s2, 0x50
	v_mad_u32_u24 v8, v4, s2, v14
	s_mov_b32 s2, s4
	s_waitcnt lgkmcnt(0)
	v_add_f64 v[28:29], v[10:11], v[16:17]
	v_add_f64 v[30:31], v[18:19], v[12:13]
	v_add_f64 v[32:33], v[10:11], -v[16:17]
	v_add_f64 v[10:11], v[12:13], -v[18:19]
	s_waitcnt vmcnt(2)
	v_fma_f64 v[12:13], v[32:33], v[22:23], v[28:29]
	v_fma_f64 v[16:17], v[30:31], v[22:23], v[10:11]
	v_fma_f64 v[18:19], -v[32:33], v[22:23], v[28:29]
	v_fma_f64 v[22:23], v[30:31], v[22:23], -v[10:11]
	v_fma_f64 v[10:11], -v[30:31], v[20:21], v[12:13]
	v_fma_f64 v[12:13], v[32:33], v[20:21], v[16:17]
	v_fma_f64 v[16:17], v[30:31], v[20:21], v[18:19]
	v_fma_f64 v[18:19], v[32:33], v[20:21], v[22:23]
	ds_write_b128 v14, v[10:13] offset:9216
	ds_write_b128 v15, v[16:19] offset:27648
	ds_read_b128 v[10:13], v14 offset:12288
	ds_read_b128 v[16:19], v15 offset:24576
	s_waitcnt lgkmcnt(0)
	v_add_f64 v[20:21], v[10:11], v[16:17]
	v_add_f64 v[22:23], v[18:19], v[12:13]
	v_add_f64 v[28:29], v[10:11], -v[16:17]
	v_add_f64 v[10:11], v[12:13], -v[18:19]
	s_waitcnt vmcnt(1)
	v_fma_f64 v[12:13], v[28:29], v[26:27], v[20:21]
	v_fma_f64 v[16:17], v[22:23], v[26:27], v[10:11]
	v_fma_f64 v[18:19], -v[28:29], v[26:27], v[20:21]
	v_fma_f64 v[20:21], v[22:23], v[26:27], -v[10:11]
	v_fma_f64 v[10:11], -v[22:23], v[24:25], v[12:13]
	v_fma_f64 v[12:13], v[28:29], v[24:25], v[16:17]
	v_fma_f64 v[16:17], v[22:23], v[24:25], v[18:19]
	;; [unrolled: 1-line block ×3, first 2 shown]
	ds_write_b128 v14, v[10:13] offset:12288
	ds_write_b128 v15, v[16:19] offset:24576
	ds_read_b128 v[16:19], v14 offset:15360
	ds_read_b128 v[20:23], v15 offset:21504
	s_waitcnt lgkmcnt(0)
	v_add_f64 v[24:25], v[16:17], v[20:21]
	v_add_f64 v[10:11], v[22:23], v[18:19]
	v_add_f64 v[12:13], v[16:17], -v[20:21]
	v_add_f64 v[16:17], v[18:19], -v[22:23]
	s_waitcnt vmcnt(0)
	v_fma_f64 v[18:19], v[12:13], v[2:3], v[24:25]
	v_fma_f64 v[20:21], v[10:11], v[2:3], v[16:17]
	v_fma_f64 v[22:23], -v[12:13], v[2:3], v[24:25]
	v_fma_f64 v[2:3], v[10:11], v[2:3], -v[16:17]
	v_fma_f64 v[16:17], -v[10:11], v[0:1], v[18:19]
	v_fma_f64 v[18:19], v[12:13], v[0:1], v[20:21]
	v_fma_f64 v[10:11], v[10:11], v[0:1], v[22:23]
	;; [unrolled: 1-line block ×3, first 2 shown]
	v_mul_lo_u16_sdwa v0, v4, s7 dst_sel:DWORD dst_unused:UNUSED_PAD src0_sel:BYTE_0 src1_sel:DWORD
	v_lshrrev_b16_e32 v2, 10, v0
	ds_write_b128 v14, v[16:19] offset:15360
	ds_write_b128 v15, v[10:13] offset:21504
	s_waitcnt lgkmcnt(0)
	s_barrier
	s_barrier
	ds_read_b128 v[10:13], v14 offset:6144
	ds_read_b128 v[15:18], v14 offset:3072
	;; [unrolled: 1-line block ×10, first 2 shown]
	ds_read_b128 v[51:54], v14
	ds_read_b128 v[55:58], v14 offset:33792
	v_mul_lo_u16_e32 v0, 6, v2
	v_sub_u16_e32 v3, v4, v0
	v_mul_u32_u24_sdwa v0, v3, v5 dst_sel:DWORD dst_unused:UNUSED_PAD src0_sel:BYTE_0 src1_sel:DWORD
	v_lshlrev_b32_e32 v5, 4, v0
	s_waitcnt lgkmcnt(1)
	v_add_f64 v[0:1], v[51:52], v[35:36]
	v_add_f64 v[59:60], v[53:54], v[37:38]
	;; [unrolled: 1-line block ×7, first 2 shown]
	v_add_f64 v[37:38], v[37:38], -v[45:46]
	v_add_f64 v[35:36], v[35:36], -v[43:44]
	v_add_f64 v[69:70], v[19:20], v[27:28]
	v_add_f64 v[73:74], v[21:22], -v[29:30]
	v_add_f64 v[75:76], v[19:20], -v[27:28]
	v_add_f64 v[19:20], v[15:16], v[23:24]
	v_add_f64 v[21:22], v[17:18], v[25:26]
	;; [unrolled: 1-line block ×6, first 2 shown]
	v_add_f64 v[59:60], v[25:26], -v[33:34]
	v_add_f64 v[79:80], v[23:24], -v[31:32]
	v_add_f64 v[23:24], v[39:40], v[47:48]
	v_add_f64 v[25:26], v[41:42], v[49:50]
	v_fma_f64 v[53:54], v[63:64], -0.5, v[53:54]
	s_waitcnt lgkmcnt(0)
	v_add_f64 v[63:64], v[49:50], v[57:58]
	v_add_f64 v[27:28], v[65:66], v[27:28]
	;; [unrolled: 1-line block ×3, first 2 shown]
	v_fma_f64 v[67:68], v[71:72], -0.5, v[12:13]
	v_add_f64 v[31:32], v[19:20], v[31:32]
	v_add_f64 v[33:34], v[21:22], v[33:34]
	;; [unrolled: 1-line block ×4, first 2 shown]
	v_fma_f64 v[51:52], v[61:62], -0.5, v[51:52]
	v_add_f64 v[61:62], v[47:48], v[55:56]
	v_add_f64 v[47:48], v[47:48], -v[55:56]
	v_fma_f64 v[41:42], v[63:64], -0.5, v[41:42]
	v_fma_f64 v[65:66], v[69:70], -0.5, v[10:11]
	;; [unrolled: 1-line block ×3, first 2 shown]
	v_add_f64 v[10:11], v[0:1], v[27:28]
	v_add_f64 v[12:13], v[43:44], v[29:30]
	v_add_f64 v[15:16], v[0:1], -v[27:28]
	v_fma_f64 v[0:1], v[75:76], s[2:3], v[67:68]
	v_fma_f64 v[45:46], v[45:46], -0.5, v[17:18]
	v_add_f64 v[17:18], v[43:44], -v[29:30]
	v_fma_f64 v[27:28], v[75:76], s[4:5], v[67:68]
	v_add_f64 v[19:20], v[31:32], v[23:24]
	v_add_f64 v[21:22], v[33:34], v[25:26]
	v_add_f64 v[23:24], v[31:32], -v[23:24]
	v_add_f64 v[25:26], v[33:34], -v[25:26]
	;; [unrolled: 1-line block ×3, first 2 shown]
	v_fma_f64 v[39:40], v[61:62], -0.5, v[39:40]
	v_fma_f64 v[29:30], v[37:38], s[4:5], v[51:52]
	v_fma_f64 v[31:32], v[37:38], s[2:3], v[51:52]
	;; [unrolled: 1-line block ×4, first 2 shown]
	s_barrier
	v_fma_f64 v[37:38], v[73:74], s[4:5], v[65:66]
	ds_write_b128 v8, v[10:13]
	ds_write_b128 v8, v[15:18] offset:48
	ds_write_b128 v8, v[19:22] offset:18432
	;; [unrolled: 1-line block ×3, first 2 shown]
	v_mul_f64 v[10:11], v[0:1], s[4:5]
	v_mul_f64 v[0:1], v[0:1], 0.5
	v_fma_f64 v[43:44], v[73:74], s[2:3], v[65:66]
	v_mul_f64 v[12:13], v[27:28], s[4:5]
	v_mul_f64 v[15:16], v[27:28], -0.5
	v_fma_f64 v[57:58], v[49:50], s[4:5], v[39:40]
	v_mul_f64 v[17:18], v[51:52], s[4:5]
	v_mul_f64 v[19:20], v[51:52], 0.5
	v_fma_f64 v[39:40], v[49:50], s[2:3], v[39:40]
	v_mul_f64 v[21:22], v[41:42], s[4:5]
	v_mul_f64 v[23:24], v[41:42], -0.5
	v_fma_f64 v[33:34], v[35:36], s[2:3], v[53:54]
	v_fma_f64 v[25:26], v[37:38], 0.5, v[10:11]
	v_fma_f64 v[0:1], v[37:38], s[2:3], v[0:1]
	v_fma_f64 v[35:36], v[35:36], s[4:5], v[53:54]
	v_fma_f64 v[27:28], v[43:44], -0.5, v[12:13]
	v_fma_f64 v[37:38], v[43:44], s[2:3], v[15:16]
	v_fma_f64 v[47:48], v[59:60], s[4:5], v[69:70]
	;; [unrolled: 1-line block ×3, first 2 shown]
	v_fma_f64 v[41:42], v[57:58], 0.5, v[17:18]
	v_fma_f64 v[43:44], v[57:58], s[2:3], v[19:20]
	v_fma_f64 v[53:54], v[59:60], s[2:3], v[69:70]
	;; [unrolled: 1-line block ×3, first 2 shown]
	v_fma_f64 v[49:50], v[39:40], -0.5, v[21:22]
	v_fma_f64 v[51:52], v[39:40], s[2:3], v[23:24]
	v_add_f64 v[10:11], v[29:30], v[25:26]
	v_add_f64 v[12:13], v[33:34], v[0:1]
	;; [unrolled: 1-line block ×4, first 2 shown]
	v_add_f64 v[15:16], v[29:30], -v[25:26]
	v_add_f64 v[17:18], v[33:34], -v[0:1]
	;; [unrolled: 1-line block ×4, first 2 shown]
	v_add_f64 v[27:28], v[47:48], v[41:42]
	v_add_f64 v[29:30], v[55:56], v[43:44]
	;; [unrolled: 1-line block ×4, first 2 shown]
	v_add_f64 v[31:32], v[47:48], -v[41:42]
	v_add_f64 v[33:34], v[55:56], -v[43:44]
	;; [unrolled: 1-line block ×4, first 2 shown]
	ds_write_b128 v8, v[10:13] offset:16
	ds_write_b128 v8, v[19:22] offset:32
	;; [unrolled: 1-line block ×8, first 2 shown]
	s_waitcnt lgkmcnt(0)
	s_barrier
	global_load_dwordx4 v[10:13], v5, s[12:13]
	global_load_dwordx4 v[15:18], v5, s[12:13] offset:16
	global_load_dwordx4 v[19:22], v5, s[12:13] offset:32
	;; [unrolled: 1-line block ×4, first 2 shown]
	s_mov_b32 s7, 0xaaab
	v_add_u32_e32 v0, 0xc0, v4
	v_mul_u32_u24_sdwa v1, v0, s7 dst_sel:DWORD dst_unused:UNUSED_PAD src0_sel:WORD_0 src1_sel:DWORD
	v_lshrrev_b32_e32 v5, 18, v1
	v_mul_lo_u16_e32 v1, 6, v5
	v_sub_u16_e32 v8, v0, v1
	v_mul_u32_u24_e32 v1, 5, v8
	v_lshlrev_b32_e32 v1, 4, v1
	global_load_dwordx4 v[31:34], v1, s[12:13]
	global_load_dwordx4 v[35:38], v1, s[12:13] offset:16
	global_load_dwordx4 v[39:42], v1, s[12:13] offset:32
	;; [unrolled: 1-line block ×4, first 2 shown]
	ds_read_b128 v[51:54], v14 offset:6144
	ds_read_b128 v[55:58], v14 offset:3072
	;; [unrolled: 1-line block ×5, first 2 shown]
	v_mov_b32_e32 v1, 4
	v_mul_u32_u24_e32 v79, 0x240, v2
	v_lshlrev_b32_sdwa v80, v1, v3 dst_sel:DWORD dst_unused:UNUSED_PAD src0_sel:DWORD src1_sel:BYTE_0
	v_add3_u32 v79, 0, v79, v80
	s_waitcnt vmcnt(9) lgkmcnt(4)
	v_mul_f64 v[71:72], v[53:54], v[12:13]
	v_mul_f64 v[12:13], v[51:52], v[12:13]
	s_waitcnt vmcnt(8) lgkmcnt(2)
	v_mul_f64 v[73:74], v[61:62], v[17:18]
	v_mul_f64 v[17:18], v[59:60], v[17:18]
	;; [unrolled: 3-line block ×3, first 2 shown]
	v_fma_f64 v[71:72], v[51:52], v[10:11], v[71:72]
	v_fma_f64 v[75:76], v[53:54], v[10:11], -v[12:13]
	ds_read_b128 v[10:13], v14 offset:15360
	v_fma_f64 v[59:60], v[59:60], v[15:16], v[73:74]
	v_fma_f64 v[61:62], v[61:62], v[15:16], -v[17:18]
	ds_read_b128 v[15:18], v14 offset:24576
	ds_read_b128 v[51:54], v14 offset:21504
	v_fma_f64 v[67:68], v[67:68], v[19:20], v[77:78]
	v_fma_f64 v[69:70], v[69:70], v[19:20], -v[21:22]
	ds_read_b128 v[19:22], v14 offset:30720
	s_waitcnt vmcnt(6) lgkmcnt(2)
	v_mul_f64 v[73:74], v[17:18], v[25:26]
	v_mul_f64 v[25:26], v[15:16], v[25:26]
	s_waitcnt vmcnt(4)
	v_mul_f64 v[77:78], v[65:66], v[33:34]
	v_fma_f64 v[73:74], v[15:16], v[23:24], v[73:74]
	v_fma_f64 v[23:24], v[17:18], v[23:24], -v[25:26]
	ds_read_b128 v[15:18], v14 offset:27648
	s_waitcnt lgkmcnt(1)
	v_mul_f64 v[25:26], v[21:22], v[29:30]
	v_mul_f64 v[29:30], v[19:20], v[29:30]
	v_fma_f64 v[2:3], v[63:64], v[31:32], v[77:78]
	v_fma_f64 v[25:26], v[19:20], v[27:28], v[25:26]
	v_fma_f64 v[27:28], v[21:22], v[27:28], -v[29:30]
	v_mul_f64 v[19:20], v[63:64], v[33:34]
	s_waitcnt vmcnt(3)
	v_mul_f64 v[21:22], v[12:13], v[37:38]
	v_mul_f64 v[29:30], v[10:11], v[37:38]
	s_waitcnt vmcnt(2)
	v_mul_f64 v[33:34], v[53:54], v[41:42]
	v_mul_f64 v[37:38], v[51:52], v[41:42]
	v_add_f64 v[63:64], v[69:70], v[27:28]
	v_fma_f64 v[31:32], v[65:66], v[31:32], -v[19:20]
	v_fma_f64 v[41:42], v[10:11], v[35:36], v[21:22]
	v_fma_f64 v[29:30], v[12:13], v[35:36], -v[29:30]
	ds_read_b128 v[10:13], v14 offset:33792
	ds_read_b128 v[19:22], v14
	s_waitcnt vmcnt(1) lgkmcnt(2)
	v_mul_f64 v[35:36], v[17:18], v[45:46]
	v_mul_f64 v[45:46], v[15:16], v[45:46]
	v_fma_f64 v[33:34], v[51:52], v[39:40], v[33:34]
	v_fma_f64 v[37:38], v[53:54], v[39:40], -v[37:38]
	s_waitcnt vmcnt(0) lgkmcnt(1)
	v_mul_f64 v[39:40], v[12:13], v[49:50]
	v_mul_f64 v[49:50], v[10:11], v[49:50]
	v_add_f64 v[51:52], v[67:68], v[25:26]
	v_add_f64 v[53:54], v[67:68], -v[25:26]
	v_fma_f64 v[15:16], v[15:16], v[43:44], v[35:36]
	v_fma_f64 v[17:18], v[17:18], v[43:44], -v[45:46]
	v_add_f64 v[35:36], v[59:60], v[73:74]
	s_waitcnt lgkmcnt(0)
	v_add_f64 v[45:46], v[21:22], v[61:62]
	v_fma_f64 v[10:11], v[10:11], v[47:48], v[39:40]
	v_fma_f64 v[12:13], v[12:13], v[47:48], -v[49:50]
	v_add_f64 v[39:40], v[61:62], v[23:24]
	v_add_f64 v[49:50], v[75:76], v[69:70]
	v_add_f64 v[43:44], v[19:20], v[59:60]
	v_add_f64 v[47:48], v[71:72], v[67:68]
	v_add_f64 v[61:62], v[61:62], -v[23:24]
	v_add_f64 v[65:66], v[69:70], -v[27:28]
	v_add_f64 v[67:68], v[41:42], v[15:16]
	v_add_f64 v[69:70], v[29:30], v[17:18]
	;; [unrolled: 1-line block ×3, first 2 shown]
	v_fma_f64 v[19:20], v[35:36], -0.5, v[19:20]
	v_fma_f64 v[21:22], v[39:40], -0.5, v[21:22]
	v_add_f64 v[35:36], v[57:58], v[29:30]
	v_add_f64 v[39:40], v[41:42], -v[15:16]
	v_add_f64 v[41:42], v[29:30], -v[17:18]
	v_add_f64 v[29:30], v[2:3], v[33:34]
	v_add_f64 v[23:24], v[45:46], v[23:24]
	;; [unrolled: 1-line block ×4, first 2 shown]
	v_fma_f64 v[49:50], v[63:64], -0.5, v[75:76]
	v_add_f64 v[43:44], v[43:44], v[73:74]
	v_add_f64 v[25:26], v[47:48], v[25:26]
	v_add_f64 v[47:48], v[31:32], v[37:38]
	v_fma_f64 v[51:52], v[51:52], -0.5, v[71:72]
	v_fma_f64 v[57:58], v[69:70], -0.5, v[57:58]
	v_add_f64 v[69:70], v[29:30], v[10:11]
	v_fma_f64 v[29:30], v[45:46], -0.5, v[31:32]
	v_fma_f64 v[31:32], v[53:54], s[2:3], v[49:50]
	v_add_f64 v[59:60], v[59:60], -v[73:74]
	v_add_f64 v[73:74], v[33:34], v[10:11]
	v_add_f64 v[33:34], v[33:34], -v[10:11]
	v_add_f64 v[63:64], v[77:78], v[15:16]
	v_add_f64 v[10:11], v[43:44], v[25:26]
	v_add_f64 v[15:16], v[43:44], -v[25:26]
	v_fma_f64 v[25:26], v[53:54], s[4:5], v[49:50]
	v_add_f64 v[37:38], v[37:38], -v[12:13]
	v_fma_f64 v[55:56], v[67:68], -0.5, v[55:56]
	v_add_f64 v[67:68], v[35:36], v[17:18]
	v_add_f64 v[45:46], v[47:48], v[12:13]
	;; [unrolled: 1-line block ×3, first 2 shown]
	v_add_f64 v[17:18], v[23:24], -v[27:28]
	v_fma_f64 v[23:24], v[65:66], s[4:5], v[51:52]
	v_mul_f64 v[35:36], v[31:32], s[4:5]
	v_mul_f64 v[31:32], v[31:32], 0.5
	v_fma_f64 v[47:48], v[65:66], s[2:3], v[51:52]
	v_mul_f64 v[49:50], v[25:26], s[4:5]
	v_mul_f64 v[25:26], v[25:26], -0.5
	v_fma_f64 v[2:3], v[73:74], -0.5, v[2:3]
	v_fma_f64 v[27:28], v[61:62], s[4:5], v[19:20]
	v_fma_f64 v[43:44], v[59:60], s[2:3], v[21:22]
	;; [unrolled: 1-line block ×3, first 2 shown]
	v_fma_f64 v[35:36], v[23:24], 0.5, v[35:36]
	v_fma_f64 v[31:32], v[23:24], s[2:3], v[31:32]
	v_fma_f64 v[59:60], v[33:34], s[2:3], v[29:30]
	v_fma_f64 v[51:52], v[61:62], s[2:3], v[19:20]
	v_fma_f64 v[49:50], v[47:48], -0.5, v[49:50]
	v_fma_f64 v[47:48], v[47:48], s[2:3], v[25:26]
	v_fma_f64 v[61:62], v[33:34], s[4:5], v[29:30]
	s_barrier
	v_fma_f64 v[65:66], v[37:38], s[4:5], v[2:3]
	v_add_f64 v[21:22], v[27:28], v[35:36]
	v_add_f64 v[23:24], v[43:44], v[31:32]
	ds_write_b128 v79, v[10:13]
	ds_write_b128 v79, v[15:18] offset:288
	v_mul_f64 v[10:11], v[59:60], s[4:5]
	v_mul_f64 v[12:13], v[59:60], 0.5
	v_add_f64 v[25:26], v[27:28], -v[35:36]
	v_add_f64 v[27:28], v[43:44], -v[31:32]
	v_add_f64 v[29:30], v[51:52], v[49:50]
	v_add_f64 v[31:32], v[53:54], v[47:48]
	v_fma_f64 v[2:3], v[37:38], s[2:3], v[2:3]
	v_mul_f64 v[15:16], v[61:62], s[4:5]
	v_mul_f64 v[17:18], v[61:62], -0.5
	v_add_f64 v[33:34], v[51:52], -v[49:50]
	v_add_f64 v[35:36], v[53:54], -v[47:48]
	ds_write_b128 v79, v[21:24] offset:96
	ds_write_b128 v79, v[29:32] offset:192
	;; [unrolled: 1-line block ×4, first 2 shown]
	v_fma_f64 v[23:24], v[65:66], 0.5, v[10:11]
	v_fma_f64 v[25:26], v[65:66], s[2:3], v[12:13]
	v_fma_f64 v[27:28], v[41:42], s[4:5], v[55:56]
	;; [unrolled: 1-line block ×5, first 2 shown]
	v_fma_f64 v[35:36], v[2:3], -0.5, v[15:16]
	v_fma_f64 v[2:3], v[2:3], s[2:3], v[17:18]
	v_add_f64 v[19:20], v[63:64], v[69:70]
	v_add_f64 v[21:22], v[67:68], v[45:46]
	;; [unrolled: 1-line block ×4, first 2 shown]
	v_add_f64 v[23:24], v[27:28], -v[23:24]
	v_add_f64 v[25:26], v[29:30], -v[25:26]
	v_add_f64 v[27:28], v[31:32], v[35:36]
	v_add_f64 v[29:30], v[33:34], v[2:3]
	v_add_f64 v[10:11], v[63:64], -v[69:70]
	v_add_f64 v[12:13], v[67:68], -v[45:46]
	;; [unrolled: 1-line block ×4, first 2 shown]
	v_mul_u32_u24_e32 v2, 0x240, v5
	v_lshlrev_b32_e32 v3, 4, v8
	v_add3_u32 v2, 0, v2, v3
	ds_write_b128 v2, v[19:22]
	ds_write_b128 v2, v[15:18] offset:96
	ds_write_b128 v2, v[27:30] offset:192
	;; [unrolled: 1-line block ×5, first 2 shown]
	v_mov_b32_e32 v2, 57
	v_mul_lo_u16_sdwa v2, v4, v2 dst_sel:DWORD dst_unused:UNUSED_PAD src0_sel:BYTE_0 src1_sel:DWORD
	v_lshrrev_b16_e32 v8, 11, v2
	v_mul_lo_u16_e32 v2, 36, v8
	v_sub_u16_e32 v77, v4, v2
	v_mov_b32_e32 v2, 3
	v_mul_u32_u24_sdwa v2, v77, v2 dst_sel:DWORD dst_unused:UNUSED_PAD src0_sel:BYTE_0 src1_sel:DWORD
	v_lshlrev_b32_e32 v2, 4, v2
	s_waitcnt lgkmcnt(0)
	s_barrier
	global_load_dwordx4 v[10:13], v2, s[12:13] offset:480
	global_load_dwordx4 v[15:18], v2, s[12:13] offset:496
	;; [unrolled: 1-line block ×3, first 2 shown]
	s_mov_b32 s2, 0xe38f
	v_mul_u32_u24_sdwa v5, v0, s2 dst_sel:DWORD dst_unused:UNUSED_PAD src0_sel:WORD_0 src1_sel:DWORD
	v_lshrrev_b32_e32 v78, 21, v5
	v_mul_lo_u16_e32 v2, 36, v78
	v_sub_u16_e32 v79, v0, v2
	v_mul_u32_u24_e32 v2, 3, v79
	v_lshlrev_b32_e32 v2, 4, v2
	global_load_dwordx4 v[23:26], v2, s[12:13] offset:480
	global_load_dwordx4 v[27:30], v2, s[12:13] offset:496
	;; [unrolled: 1-line block ×3, first 2 shown]
	v_add_u32_e32 v2, 0x180, v4
	v_mul_u32_u24_sdwa v3, v2, s2 dst_sel:DWORD dst_unused:UNUSED_PAD src0_sel:WORD_0 src1_sel:DWORD
	v_lshrrev_b32_e32 v80, 21, v3
	v_mul_lo_u16_e32 v35, 36, v80
	v_sub_u16_e32 v81, v2, v35
	v_mul_u32_u24_e32 v35, 3, v81
	v_lshlrev_b32_e32 v47, 4, v35
	global_load_dwordx4 v[35:38], v47, s[12:13] offset:480
	global_load_dwordx4 v[39:42], v47, s[12:13] offset:496
	;; [unrolled: 1-line block ×3, first 2 shown]
	ds_read_b128 v[47:50], v14 offset:9216
	ds_read_b128 v[51:54], v14 offset:12288
	;; [unrolled: 1-line block ×5, first 2 shown]
	v_lshlrev_b32_sdwa v1, v1, v77 dst_sel:DWORD dst_unused:UNUSED_PAD src0_sel:DWORD src1_sel:BYTE_0
	v_mul_u32_u24_e32 v8, 0x900, v8
	v_add3_u32 v1, 0, v8, v1
	v_lshlrev_b32_e32 v8, 4, v79
	s_movk_i32 s2, 0x90
	v_cmp_gt_u32_e32 vcc, s2, v4
	v_lshrrev_b32_e32 v5, 23, v5
	s_movk_i32 s2, 0x8f
	s_waitcnt vmcnt(8) lgkmcnt(4)
	v_mul_f64 v[67:68], v[49:50], v[12:13]
	v_mul_f64 v[12:13], v[47:48], v[12:13]
	s_waitcnt vmcnt(7) lgkmcnt(2)
	v_mul_f64 v[69:70], v[57:58], v[17:18]
	v_mul_f64 v[17:18], v[55:56], v[17:18]
	v_fma_f64 v[67:68], v[47:48], v[10:11], v[67:68]
	v_fma_f64 v[71:72], v[49:50], v[10:11], -v[12:13]
	ds_read_b128 v[10:13], v14 offset:30720
	s_waitcnt vmcnt(6) lgkmcnt(1)
	v_mul_f64 v[47:48], v[65:66], v[21:22]
	v_mul_f64 v[21:22], v[63:64], v[21:22]
	v_fma_f64 v[55:56], v[55:56], v[15:16], v[69:70]
	v_fma_f64 v[57:58], v[57:58], v[15:16], -v[17:18]
	s_waitcnt vmcnt(5)
	v_mul_f64 v[69:70], v[53:54], v[25:26]
	v_mul_f64 v[25:26], v[51:52], v[25:26]
	v_fma_f64 v[63:64], v[63:64], v[19:20], v[47:48]
	v_fma_f64 v[65:66], v[65:66], v[19:20], -v[21:22]
	ds_read_b128 v[15:18], v14 offset:21504
	ds_read_b128 v[19:22], v14 offset:24576
	ds_read_b128 v[47:50], v14
	v_fma_f64 v[51:52], v[51:52], v[23:24], v[69:70]
	v_fma_f64 v[53:54], v[53:54], v[23:24], -v[25:26]
	s_waitcnt vmcnt(4) lgkmcnt(2)
	v_mul_f64 v[23:24], v[17:18], v[29:30]
	v_mul_f64 v[25:26], v[15:16], v[29:30]
	s_waitcnt lgkmcnt(0)
	v_add_f64 v[57:58], v[49:50], -v[57:58]
	v_add_f64 v[65:66], v[71:72], -v[65:66]
	s_waitcnt vmcnt(3)
	v_mul_f64 v[29:30], v[12:13], v[33:34]
	v_add_f64 v[55:56], v[47:48], -v[55:56]
	v_add_f64 v[63:64], v[67:68], -v[63:64]
	v_mul_f64 v[33:34], v[10:11], v[33:34]
	v_fma_f64 v[69:70], v[15:16], v[27:28], v[23:24]
	v_fma_f64 v[73:74], v[17:18], v[27:28], -v[25:26]
	v_fma_f64 v[25:26], v[49:50], 2.0, -v[57:58]
	v_fma_f64 v[27:28], v[71:72], 2.0, -v[65:66]
	v_fma_f64 v[75:76], v[10:11], v[31:32], v[29:30]
	v_fma_f64 v[23:24], v[47:48], 2.0, -v[55:56]
	v_fma_f64 v[10:11], v[67:68], 2.0, -v[63:64]
	ds_read_b128 v[15:18], v14 offset:33792
	v_fma_f64 v[31:32], v[12:13], v[31:32], -v[33:34]
	s_waitcnt vmcnt(2)
	v_mul_f64 v[29:30], v[61:62], v[37:38]
	v_mul_f64 v[33:34], v[59:60], v[37:38]
	s_waitcnt vmcnt(1)
	v_mul_f64 v[37:38], v[21:22], v[41:42]
	v_mul_f64 v[41:42], v[19:20], v[41:42]
	s_waitcnt vmcnt(0) lgkmcnt(0)
	v_mul_f64 v[47:48], v[17:18], v[45:46]
	v_add_f64 v[12:13], v[25:26], -v[27:28]
	v_mul_f64 v[27:28], v[15:16], v[45:46]
	v_add_f64 v[10:11], v[23:24], -v[10:11]
	v_fma_f64 v[45:46], v[59:60], v[35:36], v[29:30]
	v_add_f64 v[29:30], v[57:58], -v[63:64]
	v_fma_f64 v[37:38], v[19:20], v[39:40], v[37:38]
	v_fma_f64 v[39:40], v[21:22], v[39:40], -v[41:42]
	v_fma_f64 v[41:42], v[15:16], v[43:44], v[47:48]
	v_add_f64 v[59:60], v[51:52], -v[75:76]
	v_fma_f64 v[43:44], v[17:18], v[43:44], -v[27:28]
	v_add_f64 v[27:28], v[55:56], v[65:66]
	v_fma_f64 v[15:16], v[23:24], 2.0, -v[10:11]
	v_fma_f64 v[17:18], v[25:26], 2.0, -v[12:13]
	ds_read_b128 v[19:22], v14 offset:3072
	ds_read_b128 v[23:26], v14 offset:6144
	v_fma_f64 v[35:36], v[61:62], v[35:36], -v[33:34]
	v_add_f64 v[61:62], v[53:54], -v[31:32]
	v_fma_f64 v[33:34], v[57:58], 2.0, -v[29:30]
	s_waitcnt lgkmcnt(1)
	v_add_f64 v[47:48], v[19:20], -v[69:70]
	v_add_f64 v[49:50], v[21:22], -v[73:74]
	v_fma_f64 v[31:32], v[55:56], 2.0, -v[27:28]
	s_waitcnt lgkmcnt(0)
	s_barrier
	ds_write_b128 v1, v[15:18]
	v_fma_f64 v[15:16], v[51:52], 2.0, -v[59:60]
	v_fma_f64 v[17:18], v[19:20], 2.0, -v[47:48]
	;; [unrolled: 1-line block ×4, first 2 shown]
	v_add_f64 v[37:38], v[23:24], -v[37:38]
	v_add_f64 v[39:40], v[25:26], -v[39:40]
	ds_write_b128 v1, v[31:34] offset:576
	v_add_f64 v[33:34], v[45:46], -v[41:42]
	v_add_f64 v[31:32], v[35:36], -v[43:44]
	ds_write_b128 v1, v[10:13] offset:1152
	v_add_f64 v[10:11], v[17:18], -v[15:16]
	v_add_f64 v[12:13], v[21:22], -v[19:20]
	v_fma_f64 v[41:42], v[23:24], 2.0, -v[37:38]
	v_fma_f64 v[43:44], v[25:26], 2.0, -v[39:40]
	v_add_f64 v[15:16], v[47:48], v[61:62]
	v_fma_f64 v[25:26], v[45:46], 2.0, -v[33:34]
	v_fma_f64 v[35:36], v[35:36], 2.0, -v[31:32]
	ds_write_b128 v1, v[27:30] offset:1728
	v_fma_f64 v[19:20], v[17:18], 2.0, -v[10:11]
	v_add_f64 v[17:18], v[49:50], -v[59:60]
	v_fma_f64 v[21:22], v[21:22], 2.0, -v[12:13]
	v_add_f64 v[31:32], v[37:38], v[31:32]
	v_add_f64 v[33:34], v[39:40], -v[33:34]
	v_add_f64 v[27:28], v[41:42], -v[25:26]
	;; [unrolled: 1-line block ×3, first 2 shown]
	v_mul_u32_u24_e32 v1, 0x900, v78
	v_fma_f64 v[23:24], v[47:48], 2.0, -v[15:16]
	v_fma_f64 v[25:26], v[49:50], 2.0, -v[17:18]
	v_add3_u32 v1, 0, v1, v8
	ds_write_b128 v1, v[19:22]
	v_fma_f64 v[35:36], v[37:38], 2.0, -v[31:32]
	v_fma_f64 v[19:20], v[41:42], 2.0, -v[27:28]
	v_fma_f64 v[21:22], v[43:44], 2.0, -v[29:30]
	v_fma_f64 v[37:38], v[39:40], 2.0, -v[33:34]
	ds_write_b128 v1, v[23:26] offset:576
	ds_write_b128 v1, v[10:13] offset:1152
	;; [unrolled: 1-line block ×3, first 2 shown]
	v_mul_u32_u24_e32 v1, 0x900, v80
	v_lshlrev_b32_e32 v8, 4, v81
	v_add3_u32 v1, 0, v1, v8
	ds_write_b128 v1, v[19:22]
	ds_write_b128 v1, v[35:38] offset:576
	ds_write_b128 v1, v[27:30] offset:1152
	;; [unrolled: 1-line block ×3, first 2 shown]
	v_add_u32_e32 v1, 0xffffff70, v4
	v_cndmask_b32_e32 v75, v1, v4, vcc
	v_mul_i32_i24_e32 v8, 3, v75
	v_lshlrev_b64 v[10:11], 4, v[8:9]
	v_mov_b32_e32 v1, s13
	v_add_co_u32_e32 v19, vcc, s12, v10
	v_addc_co_u32_e32 v20, vcc, v1, v11, vcc
	s_waitcnt lgkmcnt(0)
	s_barrier
	global_load_dwordx4 v[10:13], v[19:20], off offset:2208
	global_load_dwordx4 v[15:18], v[19:20], off offset:2224
	v_mul_lo_u16_e32 v8, 0x90, v5
	global_load_dwordx4 v[19:22], v[19:20], off offset:2240
	v_sub_u16_e32 v0, v0, v8
	v_mul_u32_u24_e32 v8, 3, v0
	v_lshlrev_b32_e32 v8, 4, v8
	global_load_dwordx4 v[23:26], v8, s[12:13] offset:2208
	global_load_dwordx4 v[27:30], v8, s[12:13] offset:2224
	;; [unrolled: 1-line block ×3, first 2 shown]
	v_lshrrev_b32_e32 v8, 23, v3
	v_mul_lo_u16_e32 v3, 0x90, v8
	v_sub_u16_e32 v76, v2, v3
	v_mul_u32_u24_e32 v2, 3, v76
	v_lshlrev_b32_e32 v2, 4, v2
	global_load_dwordx4 v[35:38], v2, s[12:13] offset:2208
	global_load_dwordx4 v[39:42], v2, s[12:13] offset:2224
	;; [unrolled: 1-line block ×3, first 2 shown]
	ds_read_b128 v[47:50], v14 offset:9216
	ds_read_b128 v[51:54], v14 offset:12288
	;; [unrolled: 1-line block ×3, first 2 shown]
	v_cmp_lt_u32_e32 vcc, s2, v4
	v_mul_u32_u24_e32 v5, 0x2400, v5
	v_lshlrev_b32_e32 v0, 4, v0
	v_add3_u32 v0, 0, v5, v0
	s_movk_i32 s2, 0x23a0
	s_waitcnt vmcnt(8) lgkmcnt(2)
	v_mul_f64 v[2:3], v[49:50], v[12:13]
	v_mul_f64 v[12:13], v[47:48], v[12:13]
	s_waitcnt vmcnt(7) lgkmcnt(0)
	v_mul_f64 v[65:66], v[57:58], v[17:18]
	v_mul_f64 v[17:18], v[55:56], v[17:18]
	s_waitcnt vmcnt(5)
	v_mul_f64 v[69:70], v[53:54], v[25:26]
	v_mul_f64 v[25:26], v[51:52], v[25:26]
	v_fma_f64 v[2:3], v[47:48], v[10:11], v[2:3]
	v_fma_f64 v[63:64], v[49:50], v[10:11], -v[12:13]
	ds_read_b128 v[10:13], v14 offset:27648
	ds_read_b128 v[47:50], v14 offset:15360
	v_fma_f64 v[55:56], v[55:56], v[15:16], v[65:66]
	v_fma_f64 v[57:58], v[57:58], v[15:16], -v[17:18]
	ds_read_b128 v[59:62], v14 offset:30720
	s_waitcnt lgkmcnt(2)
	v_mul_f64 v[67:68], v[12:13], v[21:22]
	v_mul_f64 v[21:22], v[10:11], v[21:22]
	v_fma_f64 v[51:52], v[51:52], v[23:24], v[69:70]
	v_fma_f64 v[53:54], v[53:54], v[23:24], -v[25:26]
	v_fma_f64 v[65:66], v[10:11], v[19:20], v[67:68]
	v_fma_f64 v[67:68], v[12:13], v[19:20], -v[21:22]
	ds_read_b128 v[10:13], v14 offset:21504
	ds_read_b128 v[15:18], v14 offset:24576
	;; [unrolled: 1-line block ×3, first 2 shown]
	ds_read_b128 v[23:26], v14
	s_waitcnt vmcnt(3) lgkmcnt(4)
	v_mul_f64 v[71:72], v[61:62], v[33:34]
	v_mul_f64 v[33:34], v[59:60], v[33:34]
	s_waitcnt lgkmcnt(3)
	v_mul_f64 v[69:70], v[12:13], v[29:30]
	v_mul_f64 v[29:30], v[10:11], v[29:30]
	s_waitcnt lgkmcnt(0)
	v_add_f64 v[55:56], v[23:24], -v[55:56]
	v_add_f64 v[57:58], v[25:26], -v[57:58]
	;; [unrolled: 1-line block ×4, first 2 shown]
	v_fma_f64 v[59:60], v[59:60], v[31:32], v[71:72]
	v_fma_f64 v[33:34], v[61:62], v[31:32], -v[33:34]
	v_fma_f64 v[69:70], v[10:11], v[27:28], v[69:70]
	v_fma_f64 v[73:74], v[12:13], v[27:28], -v[29:30]
	v_fma_f64 v[23:24], v[23:24], 2.0, -v[55:56]
	v_fma_f64 v[25:26], v[25:26], 2.0, -v[57:58]
	;; [unrolled: 1-line block ×4, first 2 shown]
	s_waitcnt vmcnt(2)
	v_mul_f64 v[27:28], v[49:50], v[37:38]
	v_mul_f64 v[29:30], v[47:48], v[37:38]
	s_waitcnt vmcnt(1)
	v_mul_f64 v[31:32], v[17:18], v[41:42]
	v_mul_f64 v[37:38], v[15:16], v[41:42]
	;; [unrolled: 3-line block ×3, first 2 shown]
	v_add_f64 v[10:11], v[23:24], -v[2:3]
	v_add_f64 v[12:13], v[25:26], -v[12:13]
	v_fma_f64 v[2:3], v[47:48], v[35:36], v[27:28]
	v_fma_f64 v[35:36], v[49:50], v[35:36], -v[29:30]
	v_fma_f64 v[47:48], v[15:16], v[39:40], v[31:32]
	v_fma_f64 v[37:38], v[17:18], v[39:40], -v[37:38]
	;; [unrolled: 2-line block ×3, first 2 shown]
	v_mov_b32_e32 v21, 0x2400
	v_cndmask_b32_e32 v21, 0, v21, vcc
	v_lshlrev_b32_e32 v22, 4, v75
	v_add_f64 v[19:20], v[55:56], v[67:68]
	v_add3_u32 v61, 0, v21, v22
	v_add_f64 v[21:22], v[57:58], -v[65:66]
	v_fma_f64 v[15:16], v[23:24], 2.0, -v[10:11]
	v_fma_f64 v[17:18], v[25:26], 2.0, -v[12:13]
	ds_read_b128 v[23:26], v14 offset:3072
	ds_read_b128 v[27:30], v14 offset:6144
	v_add_f64 v[49:50], v[51:52], -v[59:60]
	v_fma_f64 v[31:32], v[55:56], 2.0, -v[19:20]
	v_add_f64 v[55:56], v[53:54], -v[33:34]
	s_waitcnt lgkmcnt(1)
	v_add_f64 v[43:44], v[23:24], -v[69:70]
	v_add_f64 v[45:46], v[25:26], -v[73:74]
	v_fma_f64 v[33:34], v[57:58], 2.0, -v[21:22]
	s_waitcnt lgkmcnt(0)
	s_barrier
	ds_write_b128 v61, v[15:18]
	v_fma_f64 v[15:16], v[51:52], 2.0, -v[49:50]
	v_fma_f64 v[17:18], v[23:24], 2.0, -v[43:44]
	;; [unrolled: 1-line block ×4, first 2 shown]
	ds_write_b128 v61, v[31:34] offset:2304
	v_add_f64 v[47:48], v[27:28], -v[47:48]
	v_add_f64 v[37:38], v[29:30], -v[37:38]
	;; [unrolled: 1-line block ×4, first 2 shown]
	ds_write_b128 v61, v[10:13] offset:4608
	v_add_f64 v[10:11], v[17:18], -v[15:16]
	v_add_f64 v[12:13], v[23:24], -v[25:26]
	v_add_f64 v[15:16], v[43:44], v[55:56]
	v_fma_f64 v[39:40], v[27:28], 2.0, -v[47:48]
	v_fma_f64 v[41:42], v[29:30], 2.0, -v[37:38]
	;; [unrolled: 1-line block ×4, first 2 shown]
	ds_write_b128 v61, v[19:22] offset:6912
	v_fma_f64 v[19:20], v[17:18], 2.0, -v[10:11]
	v_add_f64 v[17:18], v[45:46], -v[49:50]
	v_fma_f64 v[21:22], v[23:24], 2.0, -v[12:13]
	v_add_f64 v[31:32], v[47:48], v[31:32]
	v_add_f64 v[33:34], v[37:38], -v[33:34]
	v_add_f64 v[27:28], v[39:40], -v[2:3]
	;; [unrolled: 1-line block ×3, first 2 shown]
	v_fma_f64 v[23:24], v[43:44], 2.0, -v[15:16]
	v_lshlrev_b32_e32 v2, 4, v76
	v_fma_f64 v[25:26], v[45:46], 2.0, -v[17:18]
	ds_write_b128 v0, v[19:22]
	v_fma_f64 v[35:36], v[47:48], 2.0, -v[31:32]
	v_fma_f64 v[37:38], v[37:38], 2.0, -v[33:34]
	;; [unrolled: 1-line block ×4, first 2 shown]
	ds_write_b128 v0, v[23:26] offset:2304
	ds_write_b128 v0, v[10:13] offset:4608
	;; [unrolled: 1-line block ×3, first 2 shown]
	v_mul_u32_u24_e32 v0, 0x2400, v8
	v_add3_u32 v0, 0, v0, v2
	ds_write_b128 v0, v[19:22]
	ds_write_b128 v0, v[35:38] offset:2304
	ds_write_b128 v0, v[27:30] offset:4608
	;; [unrolled: 1-line block ×3, first 2 shown]
	v_mul_u32_u24_e32 v0, 3, v4
	v_lshlrev_b32_e32 v0, 4, v0
	v_add_co_u32_e32 v5, vcc, s12, v0
	v_addc_co_u32_e32 v8, vcc, 0, v1, vcc
	v_add_co_u32_e32 v0, vcc, s6, v5
	v_addc_co_u32_e32 v1, vcc, 0, v8, vcc
	s_waitcnt lgkmcnt(0)
	s_barrier
	global_load_dwordx4 v[0:3], v[0:1], off offset:928
	v_add_co_u32_e32 v19, vcc, s2, v5
	v_addc_co_u32_e32 v20, vcc, 0, v8, vcc
	global_load_dwordx4 v[10:13], v[19:20], off offset:16
	global_load_dwordx4 v[15:18], v[19:20], off offset:32
	s_movk_i32 s2, 0x4000
	v_add_co_u32_e32 v19, vcc, s2, v5
	v_addc_co_u32_e32 v20, vcc, 0, v8, vcc
	s_movk_i32 s2, 0x47a0
	v_add_co_u32_e32 v31, vcc, s2, v5
	v_addc_co_u32_e32 v32, vcc, 0, v8, vcc
	global_load_dwordx4 v[19:22], v[19:20], off offset:1952
	s_nop 0
	global_load_dwordx4 v[23:26], v[31:32], off offset:16
	global_load_dwordx4 v[27:30], v[31:32], off offset:32
	s_movk_i32 s2, 0x6000
	v_add_co_u32_e32 v31, vcc, s2, v5
	v_addc_co_u32_e32 v32, vcc, 0, v8, vcc
	global_load_dwordx4 v[31:34], v[31:32], off offset:2976
	s_movk_i32 s2, 0x6ba0
	v_add_co_u32_e32 v43, vcc, s2, v5
	v_addc_co_u32_e32 v44, vcc, 0, v8, vcc
	global_load_dwordx4 v[35:38], v[43:44], off offset:16
	global_load_dwordx4 v[39:42], v[43:44], off offset:32
	ds_read_b128 v[43:46], v14 offset:9216
	ds_read_b128 v[47:50], v14 offset:12288
	;; [unrolled: 1-line block ×6, first 2 shown]
	s_waitcnt vmcnt(8) lgkmcnt(5)
	v_mul_f64 v[67:68], v[45:46], v[2:3]
	v_mul_f64 v[2:3], v[43:44], v[2:3]
	s_waitcnt vmcnt(7) lgkmcnt(3)
	v_mul_f64 v[69:70], v[53:54], v[12:13]
	v_mul_f64 v[12:13], v[51:52], v[12:13]
	;; [unrolled: 3-line block ×3, first 2 shown]
	v_fma_f64 v[43:44], v[43:44], v[0:1], v[67:68]
	v_fma_f64 v[45:46], v[45:46], v[0:1], -v[2:3]
	ds_read_b128 v[0:3], v14 offset:21504
	v_fma_f64 v[51:52], v[51:52], v[10:11], v[69:70]
	v_fma_f64 v[53:54], v[53:54], v[10:11], -v[12:13]
	ds_read_b128 v[10:13], v14 offset:24576
	v_fma_f64 v[59:60], v[59:60], v[15:16], v[71:72]
	s_waitcnt vmcnt(4) lgkmcnt(1)
	v_mul_f64 v[69:70], v[2:3], v[25:26]
	v_mul_f64 v[25:26], v[0:1], v[25:26]
	v_mul_f64 v[67:68], v[49:50], v[21:22]
	v_mul_f64 v[21:22], v[47:48], v[21:22]
	v_fma_f64 v[61:62], v[61:62], v[15:16], -v[17:18]
	s_waitcnt vmcnt(3)
	v_mul_f64 v[15:16], v[65:66], v[29:30]
	v_mul_f64 v[17:18], v[63:64], v[29:30]
	v_fma_f64 v[29:30], v[0:1], v[23:24], v[69:70]
	v_fma_f64 v[23:24], v[2:3], v[23:24], -v[25:26]
	ds_read_b128 v[0:3], v14
	v_fma_f64 v[47:48], v[47:48], v[19:20], v[67:68]
	v_fma_f64 v[49:50], v[49:50], v[19:20], -v[21:22]
	v_fma_f64 v[63:64], v[63:64], v[27:28], v[15:16]
	v_fma_f64 v[65:66], v[65:66], v[27:28], -v[17:18]
	ds_read_b128 v[15:18], v14 offset:33792
	s_waitcnt vmcnt(2)
	v_mul_f64 v[19:20], v[57:58], v[33:34]
	s_waitcnt lgkmcnt(1)
	v_add_f64 v[27:28], v[0:1], -v[51:52]
	v_add_f64 v[21:22], v[43:44], -v[59:60]
	;; [unrolled: 1-line block ×4, first 2 shown]
	v_mul_f64 v[33:34], v[55:56], v[33:34]
	s_waitcnt vmcnt(1)
	v_mul_f64 v[53:54], v[12:13], v[37:38]
	v_mul_f64 v[37:38], v[10:11], v[37:38]
	s_waitcnt vmcnt(0) lgkmcnt(0)
	v_mul_f64 v[59:60], v[17:18], v[41:42]
	v_fma_f64 v[61:62], v[0:1], 2.0, -v[27:28]
	v_fma_f64 v[0:1], v[43:44], 2.0, -v[21:22]
	v_fma_f64 v[43:44], v[55:56], v[31:32], v[19:20]
	v_mul_f64 v[19:20], v[15:16], v[41:42]
	v_fma_f64 v[31:32], v[57:58], v[31:32], -v[33:34]
	v_fma_f64 v[33:34], v[10:11], v[35:36], v[53:54]
	v_fma_f64 v[35:36], v[12:13], v[35:36], -v[37:38]
	v_fma_f64 v[37:38], v[15:16], v[39:40], v[59:60]
	ds_read_b128 v[10:13], v14 offset:3072
	v_fma_f64 v[67:68], v[2:3], 2.0, -v[51:52]
	v_fma_f64 v[2:3], v[45:46], 2.0, -v[25:26]
	v_fma_f64 v[39:40], v[17:18], v[39:40], -v[19:20]
	v_add_f64 v[17:18], v[51:52], -v[21:22]
	ds_read_b128 v[19:22], v14 offset:6144
	s_waitcnt lgkmcnt(1)
	v_add_f64 v[41:42], v[10:11], -v[29:30]
	v_add_f64 v[45:46], v[12:13], -v[23:24]
	;; [unrolled: 1-line block ×5, first 2 shown]
	s_waitcnt lgkmcnt(0)
	v_add_f64 v[53:54], v[19:20], -v[33:34]
	v_fma_f64 v[29:30], v[51:52], 2.0, -v[17:18]
	v_add_f64 v[51:52], v[21:22], -v[35:36]
	v_add_f64 v[35:36], v[47:48], -v[63:64]
	;; [unrolled: 1-line block ×4, first 2 shown]
	v_add_f64 v[15:16], v[27:28], v[25:26]
	v_fma_f64 v[33:34], v[10:11], 2.0, -v[41:42]
	v_fma_f64 v[57:58], v[12:13], 2.0, -v[45:46]
	;; [unrolled: 1-line block ×11, first 2 shown]
	v_add_f64 v[12:13], v[57:58], -v[12:13]
	v_add_f64 v[10:11], v[33:34], -v[10:11]
	v_add_f64 v[19:20], v[41:42], v[55:56]
	v_add_f64 v[21:22], v[45:46], -v[35:36]
	s_barrier
	ds_write_b128 v14, v[23:26]
	ds_write_b128 v14, v[27:30] offset:9216
	v_add_f64 v[23:24], v[59:60], -v[43:44]
	v_add_f64 v[25:26], v[61:62], -v[31:32]
	v_add_f64 v[27:28], v[53:54], v[39:40]
	v_add_f64 v[29:30], v[51:52], -v[37:38]
	v_fma_f64 v[31:32], v[33:34], 2.0, -v[10:11]
	v_fma_f64 v[33:34], v[57:58], 2.0, -v[12:13]
	;; [unrolled: 1-line block ×8, first 2 shown]
	ds_write_b128 v14, v[0:3] offset:18432
	ds_write_b128 v14, v[15:18] offset:27648
	;; [unrolled: 1-line block ×10, first 2 shown]
	s_waitcnt lgkmcnt(0)
	s_barrier
	s_and_saveexec_b64 s[2:3], s[0:1]
	s_cbranch_execz .LBB0_19
; %bb.18:
	v_lshl_add_u32 v18, v4, 4, 0
	v_mov_b32_e32 v5, v9
	ds_read_b128 v[0:3], v18
	ds_read_b128 v[10:13], v18 offset:33792
	v_mov_b32_e32 v8, s11
	v_add_co_u32_e32 v19, vcc, s10, v6
	v_lshlrev_b64 v[5:6], 4, v[4:5]
	v_addc_co_u32_e32 v7, vcc, v8, v7, vcc
	v_add_co_u32_e32 v5, vcc, v19, v5
	v_addc_co_u32_e32 v6, vcc, v7, v6, vcc
	s_waitcnt lgkmcnt(1)
	global_store_dwordx4 v[5:6], v[0:3], off
	v_add_u32_e32 v8, 0xc0, v4
	ds_read_b128 v[0:3], v18 offset:3072
	ds_read_b128 v[14:17], v18 offset:6144
	v_lshlrev_b64 v[5:6], 4, v[8:9]
	v_add_u32_e32 v8, 0x180, v4
	v_add_co_u32_e32 v5, vcc, v19, v5
	v_addc_co_u32_e32 v6, vcc, v7, v6, vcc
	s_waitcnt lgkmcnt(1)
	global_store_dwordx4 v[5:6], v[0:3], off
	s_nop 0
	v_lshlrev_b64 v[0:1], 4, v[8:9]
	v_add_u32_e32 v8, 0x240, v4
	v_add_co_u32_e32 v0, vcc, v19, v0
	v_addc_co_u32_e32 v1, vcc, v7, v1, vcc
	s_waitcnt lgkmcnt(0)
	global_store_dwordx4 v[0:1], v[14:17], off
	ds_read_b128 v[0:3], v18 offset:9216
	ds_read_b128 v[14:17], v18 offset:12288
	v_lshlrev_b64 v[5:6], 4, v[8:9]
	v_add_u32_e32 v8, 0x300, v4
	v_add_co_u32_e32 v5, vcc, v19, v5
	v_addc_co_u32_e32 v6, vcc, v7, v6, vcc
	s_waitcnt lgkmcnt(1)
	global_store_dwordx4 v[5:6], v[0:3], off
	s_nop 0
	v_lshlrev_b64 v[0:1], 4, v[8:9]
	v_add_u32_e32 v8, 0x3c0, v4
	v_add_co_u32_e32 v0, vcc, v19, v0
	v_addc_co_u32_e32 v1, vcc, v7, v1, vcc
	s_waitcnt lgkmcnt(0)
	global_store_dwordx4 v[0:1], v[14:17], off
	;; [unrolled: 15-line block ×5, first 2 shown]
	v_lshlrev_b64 v[0:1], 4, v[8:9]
	v_add_co_u32_e32 v0, vcc, v19, v0
	v_addc_co_u32_e32 v1, vcc, v7, v1, vcc
	global_store_dwordx4 v[0:1], v[10:13], off
.LBB0_19:
	s_endpgm
	.section	.rodata,"a",@progbits
	.p2align	6, 0x0
	.amdhsa_kernel fft_rtc_back_len2304_factors_6_6_4_4_4_wgs_192_tpt_192_halfLds_dp_ip_CI_unitstride_sbrr_C2R_dirReg
		.amdhsa_group_segment_fixed_size 0
		.amdhsa_private_segment_fixed_size 0
		.amdhsa_kernarg_size 88
		.amdhsa_user_sgpr_count 6
		.amdhsa_user_sgpr_private_segment_buffer 1
		.amdhsa_user_sgpr_dispatch_ptr 0
		.amdhsa_user_sgpr_queue_ptr 0
		.amdhsa_user_sgpr_kernarg_segment_ptr 1
		.amdhsa_user_sgpr_dispatch_id 0
		.amdhsa_user_sgpr_flat_scratch_init 0
		.amdhsa_user_sgpr_private_segment_size 0
		.amdhsa_uses_dynamic_stack 0
		.amdhsa_system_sgpr_private_segment_wavefront_offset 0
		.amdhsa_system_sgpr_workgroup_id_x 1
		.amdhsa_system_sgpr_workgroup_id_y 0
		.amdhsa_system_sgpr_workgroup_id_z 0
		.amdhsa_system_sgpr_workgroup_info 0
		.amdhsa_system_vgpr_workitem_id 0
		.amdhsa_next_free_vgpr 82
		.amdhsa_next_free_sgpr 22
		.amdhsa_reserve_vcc 1
		.amdhsa_reserve_flat_scratch 0
		.amdhsa_float_round_mode_32 0
		.amdhsa_float_round_mode_16_64 0
		.amdhsa_float_denorm_mode_32 3
		.amdhsa_float_denorm_mode_16_64 3
		.amdhsa_dx10_clamp 1
		.amdhsa_ieee_mode 1
		.amdhsa_fp16_overflow 0
		.amdhsa_exception_fp_ieee_invalid_op 0
		.amdhsa_exception_fp_denorm_src 0
		.amdhsa_exception_fp_ieee_div_zero 0
		.amdhsa_exception_fp_ieee_overflow 0
		.amdhsa_exception_fp_ieee_underflow 0
		.amdhsa_exception_fp_ieee_inexact 0
		.amdhsa_exception_int_div_zero 0
	.end_amdhsa_kernel
	.text
.Lfunc_end0:
	.size	fft_rtc_back_len2304_factors_6_6_4_4_4_wgs_192_tpt_192_halfLds_dp_ip_CI_unitstride_sbrr_C2R_dirReg, .Lfunc_end0-fft_rtc_back_len2304_factors_6_6_4_4_4_wgs_192_tpt_192_halfLds_dp_ip_CI_unitstride_sbrr_C2R_dirReg
                                        ; -- End function
	.section	.AMDGPU.csdata,"",@progbits
; Kernel info:
; codeLenInByte = 9344
; NumSgprs: 26
; NumVgprs: 82
; ScratchSize: 0
; MemoryBound: 0
; FloatMode: 240
; IeeeMode: 1
; LDSByteSize: 0 bytes/workgroup (compile time only)
; SGPRBlocks: 3
; VGPRBlocks: 20
; NumSGPRsForWavesPerEU: 26
; NumVGPRsForWavesPerEU: 82
; Occupancy: 3
; WaveLimiterHint : 1
; COMPUTE_PGM_RSRC2:SCRATCH_EN: 0
; COMPUTE_PGM_RSRC2:USER_SGPR: 6
; COMPUTE_PGM_RSRC2:TRAP_HANDLER: 0
; COMPUTE_PGM_RSRC2:TGID_X_EN: 1
; COMPUTE_PGM_RSRC2:TGID_Y_EN: 0
; COMPUTE_PGM_RSRC2:TGID_Z_EN: 0
; COMPUTE_PGM_RSRC2:TIDIG_COMP_CNT: 0
	.type	__hip_cuid_8524e2b07f2a8dd1,@object ; @__hip_cuid_8524e2b07f2a8dd1
	.section	.bss,"aw",@nobits
	.globl	__hip_cuid_8524e2b07f2a8dd1
__hip_cuid_8524e2b07f2a8dd1:
	.byte	0                               ; 0x0
	.size	__hip_cuid_8524e2b07f2a8dd1, 1

	.ident	"AMD clang version 19.0.0git (https://github.com/RadeonOpenCompute/llvm-project roc-6.4.0 25133 c7fe45cf4b819c5991fe208aaa96edf142730f1d)"
	.section	".note.GNU-stack","",@progbits
	.addrsig
	.addrsig_sym __hip_cuid_8524e2b07f2a8dd1
	.amdgpu_metadata
---
amdhsa.kernels:
  - .args:
      - .actual_access:  read_only
        .address_space:  global
        .offset:         0
        .size:           8
        .value_kind:     global_buffer
      - .offset:         8
        .size:           8
        .value_kind:     by_value
      - .actual_access:  read_only
        .address_space:  global
        .offset:         16
        .size:           8
        .value_kind:     global_buffer
      - .actual_access:  read_only
        .address_space:  global
        .offset:         24
        .size:           8
        .value_kind:     global_buffer
      - .offset:         32
        .size:           8
        .value_kind:     by_value
      - .actual_access:  read_only
        .address_space:  global
        .offset:         40
        .size:           8
        .value_kind:     global_buffer
      - .actual_access:  read_only
        .address_space:  global
        .offset:         48
        .size:           8
        .value_kind:     global_buffer
      - .offset:         56
        .size:           4
        .value_kind:     by_value
      - .actual_access:  read_only
        .address_space:  global
        .offset:         64
        .size:           8
        .value_kind:     global_buffer
      - .actual_access:  read_only
        .address_space:  global
        .offset:         72
        .size:           8
        .value_kind:     global_buffer
      - .address_space:  global
        .offset:         80
        .size:           8
        .value_kind:     global_buffer
    .group_segment_fixed_size: 0
    .kernarg_segment_align: 8
    .kernarg_segment_size: 88
    .language:       OpenCL C
    .language_version:
      - 2
      - 0
    .max_flat_workgroup_size: 192
    .name:           fft_rtc_back_len2304_factors_6_6_4_4_4_wgs_192_tpt_192_halfLds_dp_ip_CI_unitstride_sbrr_C2R_dirReg
    .private_segment_fixed_size: 0
    .sgpr_count:     26
    .sgpr_spill_count: 0
    .symbol:         fft_rtc_back_len2304_factors_6_6_4_4_4_wgs_192_tpt_192_halfLds_dp_ip_CI_unitstride_sbrr_C2R_dirReg.kd
    .uniform_work_group_size: 1
    .uses_dynamic_stack: false
    .vgpr_count:     82
    .vgpr_spill_count: 0
    .wavefront_size: 64
amdhsa.target:   amdgcn-amd-amdhsa--gfx906
amdhsa.version:
  - 1
  - 2
...

	.end_amdgpu_metadata
